;; amdgpu-corpus repo=ROCm/rocFFT kind=compiled arch=gfx1201 opt=O3
	.text
	.amdgcn_target "amdgcn-amd-amdhsa--gfx1201"
	.amdhsa_code_object_version 6
	.protected	fft_rtc_back_len784_factors_2_2_2_2_7_7_wgs_56_tpt_56_halfLds_half_op_CI_CI_unitstride_sbrr_C2R_dirReg ; -- Begin function fft_rtc_back_len784_factors_2_2_2_2_7_7_wgs_56_tpt_56_halfLds_half_op_CI_CI_unitstride_sbrr_C2R_dirReg
	.globl	fft_rtc_back_len784_factors_2_2_2_2_7_7_wgs_56_tpt_56_halfLds_half_op_CI_CI_unitstride_sbrr_C2R_dirReg
	.p2align	8
	.type	fft_rtc_back_len784_factors_2_2_2_2_7_7_wgs_56_tpt_56_halfLds_half_op_CI_CI_unitstride_sbrr_C2R_dirReg,@function
fft_rtc_back_len784_factors_2_2_2_2_7_7_wgs_56_tpt_56_halfLds_half_op_CI_CI_unitstride_sbrr_C2R_dirReg: ; @fft_rtc_back_len784_factors_2_2_2_2_7_7_wgs_56_tpt_56_halfLds_half_op_CI_CI_unitstride_sbrr_C2R_dirReg
; %bb.0:
	s_clause 0x2
	s_load_b128 s[8:11], s[0:1], 0x0
	s_load_b128 s[4:7], s[0:1], 0x58
	;; [unrolled: 1-line block ×3, first 2 shown]
	v_mul_u32_u24_e32 v1, 0x493, v0
	v_mov_b32_e32 v3, 0
	v_mov_b32_e32 v7, 0
	;; [unrolled: 1-line block ×3, first 2 shown]
	s_delay_alu instid0(VALU_DEP_4) | instskip(NEXT) | instid1(VALU_DEP_1)
	v_lshrrev_b32_e32 v1, 16, v1
	v_dual_mov_b32 v10, v3 :: v_dual_add_nc_u32 v9, ttmp9, v1
	s_wait_kmcnt 0x0
	v_cmp_lt_u64_e64 s2, s[10:11], 2
	s_delay_alu instid0(VALU_DEP_1)
	s_and_b32 vcc_lo, exec_lo, s2
	s_cbranch_vccnz .LBB0_8
; %bb.1:
	s_load_b64 s[2:3], s[0:1], 0x10
	v_mov_b32_e32 v7, 0
	v_mov_b32_e32 v8, 0
	s_delay_alu instid0(VALU_DEP_2)
	v_mov_b32_e32 v1, v7
	s_add_nc_u64 s[16:17], s[14:15], 8
	s_add_nc_u64 s[18:19], s[12:13], 8
	s_mov_b64 s[20:21], 1
	v_mov_b32_e32 v2, v8
	s_wait_kmcnt 0x0
	s_add_nc_u64 s[22:23], s[2:3], 8
	s_mov_b32 s3, 0
.LBB0_2:                                ; =>This Inner Loop Header: Depth=1
	s_load_b64 s[24:25], s[22:23], 0x0
                                        ; implicit-def: $vgpr5_vgpr6
	s_mov_b32 s2, exec_lo
	s_wait_kmcnt 0x0
	v_or_b32_e32 v4, s25, v10
	s_delay_alu instid0(VALU_DEP_1)
	v_cmpx_ne_u64_e32 0, v[3:4]
	s_wait_alu 0xfffe
	s_xor_b32 s26, exec_lo, s2
	s_cbranch_execz .LBB0_4
; %bb.3:                                ;   in Loop: Header=BB0_2 Depth=1
	s_cvt_f32_u32 s2, s24
	s_cvt_f32_u32 s27, s25
	s_sub_nc_u64 s[30:31], 0, s[24:25]
	s_wait_alu 0xfffe
	s_delay_alu instid0(SALU_CYCLE_1) | instskip(SKIP_1) | instid1(SALU_CYCLE_2)
	s_fmamk_f32 s2, s27, 0x4f800000, s2
	s_wait_alu 0xfffe
	v_s_rcp_f32 s2, s2
	s_delay_alu instid0(TRANS32_DEP_1) | instskip(SKIP_1) | instid1(SALU_CYCLE_2)
	s_mul_f32 s2, s2, 0x5f7ffffc
	s_wait_alu 0xfffe
	s_mul_f32 s27, s2, 0x2f800000
	s_wait_alu 0xfffe
	s_delay_alu instid0(SALU_CYCLE_2) | instskip(SKIP_1) | instid1(SALU_CYCLE_2)
	s_trunc_f32 s27, s27
	s_wait_alu 0xfffe
	s_fmamk_f32 s2, s27, 0xcf800000, s2
	s_cvt_u32_f32 s29, s27
	s_wait_alu 0xfffe
	s_delay_alu instid0(SALU_CYCLE_1) | instskip(SKIP_1) | instid1(SALU_CYCLE_2)
	s_cvt_u32_f32 s28, s2
	s_wait_alu 0xfffe
	s_mul_u64 s[34:35], s[30:31], s[28:29]
	s_wait_alu 0xfffe
	s_mul_hi_u32 s37, s28, s35
	s_mul_i32 s36, s28, s35
	s_mul_hi_u32 s2, s28, s34
	s_mul_i32 s33, s29, s34
	s_wait_alu 0xfffe
	s_add_nc_u64 s[36:37], s[2:3], s[36:37]
	s_mul_hi_u32 s27, s29, s34
	s_mul_hi_u32 s38, s29, s35
	s_add_co_u32 s2, s36, s33
	s_wait_alu 0xfffe
	s_add_co_ci_u32 s2, s37, s27
	s_mul_i32 s34, s29, s35
	s_add_co_ci_u32 s35, s38, 0
	s_wait_alu 0xfffe
	s_add_nc_u64 s[34:35], s[2:3], s[34:35]
	s_wait_alu 0xfffe
	v_add_co_u32 v4, s2, s28, s34
	s_delay_alu instid0(VALU_DEP_1) | instskip(SKIP_1) | instid1(VALU_DEP_1)
	s_cmp_lg_u32 s2, 0
	s_add_co_ci_u32 s29, s29, s35
	v_readfirstlane_b32 s28, v4
	s_wait_alu 0xfffe
	s_delay_alu instid0(VALU_DEP_1)
	s_mul_u64 s[30:31], s[30:31], s[28:29]
	s_wait_alu 0xfffe
	s_mul_hi_u32 s35, s28, s31
	s_mul_i32 s34, s28, s31
	s_mul_hi_u32 s2, s28, s30
	s_mul_i32 s33, s29, s30
	s_wait_alu 0xfffe
	s_add_nc_u64 s[34:35], s[2:3], s[34:35]
	s_mul_hi_u32 s27, s29, s30
	s_mul_hi_u32 s28, s29, s31
	s_wait_alu 0xfffe
	s_add_co_u32 s2, s34, s33
	s_add_co_ci_u32 s2, s35, s27
	s_mul_i32 s30, s29, s31
	s_add_co_ci_u32 s31, s28, 0
	s_wait_alu 0xfffe
	s_add_nc_u64 s[30:31], s[2:3], s[30:31]
	s_wait_alu 0xfffe
	v_add_co_u32 v6, s2, v4, s30
	s_delay_alu instid0(VALU_DEP_1) | instskip(SKIP_1) | instid1(VALU_DEP_1)
	s_cmp_lg_u32 s2, 0
	s_add_co_ci_u32 s2, s29, s31
	v_mul_hi_u32 v15, v9, v6
	s_wait_alu 0xfffe
	v_mad_co_u64_u32 v[4:5], null, v9, s2, 0
	v_mad_co_u64_u32 v[11:12], null, v10, v6, 0
	;; [unrolled: 1-line block ×3, first 2 shown]
	s_delay_alu instid0(VALU_DEP_3) | instskip(SKIP_1) | instid1(VALU_DEP_4)
	v_add_co_u32 v4, vcc_lo, v15, v4
	s_wait_alu 0xfffd
	v_add_co_ci_u32_e32 v5, vcc_lo, 0, v5, vcc_lo
	s_delay_alu instid0(VALU_DEP_2) | instskip(SKIP_1) | instid1(VALU_DEP_2)
	v_add_co_u32 v4, vcc_lo, v4, v11
	s_wait_alu 0xfffd
	v_add_co_ci_u32_e32 v4, vcc_lo, v5, v12, vcc_lo
	s_wait_alu 0xfffd
	v_add_co_ci_u32_e32 v5, vcc_lo, 0, v14, vcc_lo
	s_delay_alu instid0(VALU_DEP_2) | instskip(SKIP_1) | instid1(VALU_DEP_2)
	v_add_co_u32 v11, vcc_lo, v4, v13
	s_wait_alu 0xfffd
	v_add_co_ci_u32_e32 v6, vcc_lo, 0, v5, vcc_lo
	s_delay_alu instid0(VALU_DEP_2) | instskip(SKIP_1) | instid1(VALU_DEP_3)
	v_mul_lo_u32 v12, s25, v11
	v_mad_co_u64_u32 v[4:5], null, s24, v11, 0
	v_mul_lo_u32 v13, s24, v6
	s_delay_alu instid0(VALU_DEP_2) | instskip(NEXT) | instid1(VALU_DEP_2)
	v_sub_co_u32 v4, vcc_lo, v9, v4
	v_add3_u32 v5, v5, v13, v12
	s_delay_alu instid0(VALU_DEP_1) | instskip(SKIP_1) | instid1(VALU_DEP_1)
	v_sub_nc_u32_e32 v12, v10, v5
	s_wait_alu 0xfffd
	v_subrev_co_ci_u32_e64 v12, s2, s25, v12, vcc_lo
	v_add_co_u32 v13, s2, v11, 2
	s_wait_alu 0xf1ff
	v_add_co_ci_u32_e64 v14, s2, 0, v6, s2
	v_sub_co_u32 v15, s2, v4, s24
	v_sub_co_ci_u32_e32 v5, vcc_lo, v10, v5, vcc_lo
	s_wait_alu 0xf1ff
	v_subrev_co_ci_u32_e64 v12, s2, 0, v12, s2
	s_delay_alu instid0(VALU_DEP_3) | instskip(NEXT) | instid1(VALU_DEP_3)
	v_cmp_le_u32_e32 vcc_lo, s24, v15
	v_cmp_eq_u32_e64 s2, s25, v5
	s_wait_alu 0xfffd
	v_cndmask_b32_e64 v15, 0, -1, vcc_lo
	v_cmp_le_u32_e32 vcc_lo, s25, v12
	s_wait_alu 0xfffd
	v_cndmask_b32_e64 v16, 0, -1, vcc_lo
	v_cmp_le_u32_e32 vcc_lo, s24, v4
	;; [unrolled: 3-line block ×3, first 2 shown]
	s_wait_alu 0xfffd
	v_cndmask_b32_e64 v17, 0, -1, vcc_lo
	v_cmp_eq_u32_e32 vcc_lo, s25, v12
	s_wait_alu 0xf1ff
	s_delay_alu instid0(VALU_DEP_2)
	v_cndmask_b32_e64 v4, v17, v4, s2
	s_wait_alu 0xfffd
	v_cndmask_b32_e32 v12, v16, v15, vcc_lo
	v_add_co_u32 v15, vcc_lo, v11, 1
	s_wait_alu 0xfffd
	v_add_co_ci_u32_e32 v16, vcc_lo, 0, v6, vcc_lo
	s_delay_alu instid0(VALU_DEP_3) | instskip(SKIP_1) | instid1(VALU_DEP_2)
	v_cmp_ne_u32_e32 vcc_lo, 0, v12
	s_wait_alu 0xfffd
	v_dual_cndmask_b32 v5, v16, v14 :: v_dual_cndmask_b32 v12, v15, v13
	v_cmp_ne_u32_e32 vcc_lo, 0, v4
	s_wait_alu 0xfffd
	s_delay_alu instid0(VALU_DEP_2)
	v_dual_cndmask_b32 v6, v6, v5 :: v_dual_cndmask_b32 v5, v11, v12
.LBB0_4:                                ;   in Loop: Header=BB0_2 Depth=1
	s_wait_alu 0xfffe
	s_and_not1_saveexec_b32 s2, s26
	s_cbranch_execz .LBB0_6
; %bb.5:                                ;   in Loop: Header=BB0_2 Depth=1
	v_cvt_f32_u32_e32 v4, s24
	s_sub_co_i32 s26, 0, s24
	s_delay_alu instid0(VALU_DEP_1) | instskip(NEXT) | instid1(TRANS32_DEP_1)
	v_rcp_iflag_f32_e32 v4, v4
	v_mul_f32_e32 v4, 0x4f7ffffe, v4
	s_delay_alu instid0(VALU_DEP_1) | instskip(SKIP_1) | instid1(VALU_DEP_1)
	v_cvt_u32_f32_e32 v4, v4
	s_wait_alu 0xfffe
	v_mul_lo_u32 v5, s26, v4
	s_delay_alu instid0(VALU_DEP_1) | instskip(NEXT) | instid1(VALU_DEP_1)
	v_mul_hi_u32 v5, v4, v5
	v_add_nc_u32_e32 v4, v4, v5
	s_delay_alu instid0(VALU_DEP_1) | instskip(NEXT) | instid1(VALU_DEP_1)
	v_mul_hi_u32 v4, v9, v4
	v_mul_lo_u32 v5, v4, s24
	v_add_nc_u32_e32 v6, 1, v4
	s_delay_alu instid0(VALU_DEP_2) | instskip(NEXT) | instid1(VALU_DEP_1)
	v_sub_nc_u32_e32 v5, v9, v5
	v_subrev_nc_u32_e32 v11, s24, v5
	v_cmp_le_u32_e32 vcc_lo, s24, v5
	s_wait_alu 0xfffd
	s_delay_alu instid0(VALU_DEP_2) | instskip(NEXT) | instid1(VALU_DEP_1)
	v_dual_cndmask_b32 v5, v5, v11 :: v_dual_cndmask_b32 v4, v4, v6
	v_cmp_le_u32_e32 vcc_lo, s24, v5
	s_delay_alu instid0(VALU_DEP_2) | instskip(SKIP_1) | instid1(VALU_DEP_1)
	v_add_nc_u32_e32 v6, 1, v4
	s_wait_alu 0xfffd
	v_dual_cndmask_b32 v5, v4, v6 :: v_dual_mov_b32 v6, v3
.LBB0_6:                                ;   in Loop: Header=BB0_2 Depth=1
	s_wait_alu 0xfffe
	s_or_b32 exec_lo, exec_lo, s2
	s_delay_alu instid0(VALU_DEP_1) | instskip(NEXT) | instid1(VALU_DEP_2)
	v_mul_lo_u32 v4, v6, s24
	v_mul_lo_u32 v13, v5, s25
	s_load_b64 s[26:27], s[18:19], 0x0
	v_mad_co_u64_u32 v[11:12], null, v5, s24, 0
	s_load_b64 s[24:25], s[16:17], 0x0
	s_add_nc_u64 s[20:21], s[20:21], 1
	s_add_nc_u64 s[16:17], s[16:17], 8
	s_wait_alu 0xfffe
	v_cmp_ge_u64_e64 s2, s[20:21], s[10:11]
	s_add_nc_u64 s[18:19], s[18:19], 8
	s_add_nc_u64 s[22:23], s[22:23], 8
	v_add3_u32 v4, v12, v13, v4
	v_sub_co_u32 v9, vcc_lo, v9, v11
	s_wait_alu 0xfffd
	s_delay_alu instid0(VALU_DEP_2) | instskip(SKIP_2) | instid1(VALU_DEP_1)
	v_sub_co_ci_u32_e32 v4, vcc_lo, v10, v4, vcc_lo
	s_and_b32 vcc_lo, exec_lo, s2
	s_wait_kmcnt 0x0
	v_mul_lo_u32 v10, s26, v4
	v_mul_lo_u32 v11, s27, v9
	v_mad_co_u64_u32 v[7:8], null, s26, v9, v[7:8]
	v_mul_lo_u32 v4, s24, v4
	v_mul_lo_u32 v12, s25, v9
	v_mad_co_u64_u32 v[1:2], null, s24, v9, v[1:2]
	s_delay_alu instid0(VALU_DEP_4) | instskip(NEXT) | instid1(VALU_DEP_2)
	v_add3_u32 v8, v11, v8, v10
	v_add3_u32 v2, v12, v2, v4
	s_wait_alu 0xfffe
	s_cbranch_vccnz .LBB0_9
; %bb.7:                                ;   in Loop: Header=BB0_2 Depth=1
	v_dual_mov_b32 v10, v6 :: v_dual_mov_b32 v9, v5
	s_branch .LBB0_2
.LBB0_8:
	v_dual_mov_b32 v1, v7 :: v_dual_mov_b32 v2, v8
	v_dual_mov_b32 v5, v9 :: v_dual_mov_b32 v6, v10
.LBB0_9:
	s_load_b64 s[0:1], s[0:1], 0x28
	v_mul_hi_u32 v4, 0x4924925, v0
	s_lshl_b64 s[10:11], s[10:11], 3
                                        ; implicit-def: $vgpr3
	s_wait_alu 0xfffe
	s_add_nc_u64 s[2:3], s[14:15], s[10:11]
	s_wait_kmcnt 0x0
	v_cmp_gt_u64_e32 vcc_lo, s[0:1], v[5:6]
	v_cmp_le_u64_e64 s0, s[0:1], v[5:6]
	s_delay_alu instid0(VALU_DEP_1)
	s_and_saveexec_b32 s1, s0
	s_wait_alu 0xfffe
	s_xor_b32 s0, exec_lo, s1
; %bb.10:
	v_mul_u32_u24_e32 v3, 56, v4
                                        ; implicit-def: $vgpr4
                                        ; implicit-def: $vgpr7_vgpr8
	s_delay_alu instid0(VALU_DEP_1)
	v_sub_nc_u32_e32 v3, v0, v3
                                        ; implicit-def: $vgpr0
; %bb.11:
	s_wait_alu 0xfffe
	s_or_saveexec_b32 s1, s0
	s_load_b64 s[2:3], s[2:3], 0x0
	s_xor_b32 exec_lo, exec_lo, s1
	s_cbranch_execz .LBB0_15
; %bb.12:
	s_add_nc_u64 s[10:11], s[12:13], s[10:11]
	v_lshlrev_b64_e32 v[7:8], 2, v[7:8]
	s_load_b64 s[10:11], s[10:11], 0x0
	s_wait_kmcnt 0x0
	v_mul_lo_u32 v3, s11, v5
	v_mul_lo_u32 v11, s10, v6
	v_mad_co_u64_u32 v[9:10], null, s10, v5, 0
	s_delay_alu instid0(VALU_DEP_1) | instskip(SKIP_1) | instid1(VALU_DEP_2)
	v_add3_u32 v10, v10, v11, v3
	v_mul_u32_u24_e32 v3, 56, v4
	v_lshlrev_b64_e32 v[9:10], 2, v[9:10]
	s_delay_alu instid0(VALU_DEP_2) | instskip(NEXT) | instid1(VALU_DEP_1)
	v_sub_nc_u32_e32 v3, v0, v3
	v_lshlrev_b32_e32 v11, 2, v3
	s_delay_alu instid0(VALU_DEP_3) | instskip(SKIP_1) | instid1(VALU_DEP_4)
	v_add_co_u32 v0, s0, s4, v9
	s_wait_alu 0xf1ff
	v_add_co_ci_u32_e64 v4, s0, s5, v10, s0
	s_mov_b32 s4, exec_lo
	s_delay_alu instid0(VALU_DEP_2) | instskip(SKIP_1) | instid1(VALU_DEP_2)
	v_add_co_u32 v7, s0, v0, v7
	s_wait_alu 0xf1ff
	v_add_co_ci_u32_e64 v8, s0, v4, v8, s0
	s_delay_alu instid0(VALU_DEP_2) | instskip(SKIP_1) | instid1(VALU_DEP_2)
	v_add_co_u32 v9, s0, v7, v11
	s_wait_alu 0xf1ff
	v_add_co_ci_u32_e64 v10, s0, 0, v8, s0
	s_clause 0xd
	global_load_b32 v0, v[9:10], off
	global_load_b32 v4, v[9:10], off offset:224
	global_load_b32 v12, v[9:10], off offset:448
	;; [unrolled: 1-line block ×13, first 2 shown]
	v_add_nc_u32_e32 v10, 0, v11
	s_delay_alu instid0(VALU_DEP_1)
	v_add_nc_u32_e32 v11, 0x200, v10
	v_add_nc_u32_e32 v23, 0x400, v10
	;; [unrolled: 1-line block ×3, first 2 shown]
	s_wait_loadcnt 0xc
	ds_store_2addr_b32 v10, v0, v4 offset1:56
	s_wait_loadcnt 0xa
	ds_store_2addr_b32 v10, v12, v13 offset0:112 offset1:168
	s_wait_loadcnt 0x8
	ds_store_2addr_b32 v11, v14, v15 offset0:96 offset1:152
	;; [unrolled: 2-line block ×6, first 2 shown]
	v_cmpx_eq_u32_e32 55, v3
	s_cbranch_execz .LBB0_14
; %bb.13:
	global_load_b32 v0, v[7:8], off offset:3136
	v_dual_mov_b32 v4, 0 :: v_dual_mov_b32 v3, 55
	s_wait_loadcnt 0x0
	ds_store_b32 v4, v0 offset:3136
.LBB0_14:
	s_wait_alu 0xfffe
	s_or_b32 exec_lo, exec_lo, s4
.LBB0_15:
	s_delay_alu instid0(SALU_CYCLE_1)
	s_or_b32 exec_lo, exec_lo, s1
	v_lshlrev_b32_e32 v4, 2, v3
	global_wb scope:SCOPE_SE
	s_wait_dscnt 0x0
	s_wait_kmcnt 0x0
	s_barrier_signal -1
	s_barrier_wait -1
	global_inv scope:SCOPE_SE
	v_add_nc_u32_e32 v0, 0, v4
	v_sub_nc_u32_e32 v10, 0, v4
	s_mov_b32 s1, exec_lo
                                        ; implicit-def: $vgpr7_vgpr8
	ds_load_u16 v12, v0
	ds_load_u16 v13, v10 offset:3136
	s_wait_dscnt 0x0
	v_add_f16_e32 v11, v13, v12
	v_sub_f16_e32 v9, v12, v13
	v_cmpx_ne_u32_e32 0, v3
	s_wait_alu 0xfffe
	s_xor_b32 s1, exec_lo, s1
	s_cbranch_execz .LBB0_17
; %bb.16:
	v_mov_b32_e32 v4, 0
	v_add_f16_e32 v11, v13, v12
	v_sub_f16_e32 v12, v12, v13
	s_delay_alu instid0(VALU_DEP_3) | instskip(NEXT) | instid1(VALU_DEP_1)
	v_lshlrev_b64_e32 v[7:8], 2, v[3:4]
	v_add_co_u32 v7, s0, s8, v7
	s_wait_alu 0xf1ff
	s_delay_alu instid0(VALU_DEP_2)
	v_add_co_ci_u32_e64 v8, s0, s9, v8, s0
	global_load_b32 v7, v[7:8], off offset:3128
	ds_load_u16 v8, v10 offset:3138
	ds_load_u16 v9, v0 offset:2
	s_wait_dscnt 0x0
	v_add_f16_e32 v13, v8, v9
	v_sub_f16_e32 v8, v9, v8
	s_wait_loadcnt 0x0
	v_lshrrev_b32_e32 v14, 16, v7
	s_delay_alu instid0(VALU_DEP_1) | instskip(NEXT) | instid1(VALU_DEP_3)
	v_fma_f16 v15, -v12, v14, v11
	v_fma_f16 v16, v13, v14, -v8
	v_fma_f16 v9, v13, v14, v8
	v_fma_f16 v11, v12, v14, v11
	s_delay_alu instid0(VALU_DEP_4) | instskip(NEXT) | instid1(VALU_DEP_4)
	v_fmac_f16_e32 v15, v7, v13
	v_fmac_f16_e32 v16, v12, v7
	s_delay_alu instid0(VALU_DEP_4) | instskip(NEXT) | instid1(VALU_DEP_4)
	v_fmac_f16_e32 v9, v12, v7
	v_fma_f16 v11, -v7, v13, v11
	v_dual_mov_b32 v8, v4 :: v_dual_mov_b32 v7, v3
	s_delay_alu instid0(VALU_DEP_4)
	v_pack_b32_f16 v12, v15, v16
	ds_store_b32 v10, v12 offset:3136
.LBB0_17:
	s_wait_alu 0xfffe
	s_and_not1_saveexec_b32 s0, s1
	s_cbranch_execz .LBB0_19
; %bb.18:
	v_mov_b32_e32 v4, 0
	ds_load_b32 v7, v4 offset:1568
	s_wait_dscnt 0x0
	v_pk_mul_f16 v12, 0xc0004000, v7
	v_mov_b32_e32 v7, 0
	v_mov_b32_e32 v8, 0
	ds_store_b32 v4, v12 offset:1568
.LBB0_19:
	s_wait_alu 0xfffe
	s_or_b32 exec_lo, exec_lo, s0
	v_lshlrev_b64_e32 v[7:8], 2, v[7:8]
	s_add_nc_u64 s[0:1], s[8:9], 0xc38
	v_and_b32_e32 v30, 1, v3
	v_add_nc_u32_e32 v24, 0x70, v3
	v_add_nc_u32_e32 v25, 0xa8, v3
	;; [unrolled: 1-line block ×3, first 2 shown]
	s_wait_alu 0xfffe
	v_add_co_u32 v7, s0, s0, v7
	s_wait_alu 0xf1ff
	v_add_co_ci_u32_e64 v8, s0, s1, v8, s0
	v_add_nc_u32_e32 v27, 0x118, v3
	v_add_nc_u32_e32 v28, 0x150, v3
	v_lshl_add_u32 v29, v3, 2, v0
	s_clause 0x5
	global_load_b32 v4, v[7:8], off offset:224
	global_load_b32 v12, v[7:8], off offset:448
	;; [unrolled: 1-line block ×6, first 2 shown]
	v_perm_b32 v8, v9, v11, 0x5040100
	v_lshlrev_b32_e32 v37, 2, v30
	v_lshl_add_u32 v32, v24, 3, 0
	v_lshl_add_u32 v33, v25, 3, 0
	;; [unrolled: 1-line block ×3, first 2 shown]
	ds_store_b32 v0, v8
	ds_load_b32 v8, v0 offset:224
	ds_load_b32 v9, v10 offset:2912
	v_lshl_add_u32 v35, v27, 3, 0
	v_lshl_add_u32 v36, v28, 3, 0
	v_lshlrev_b32_e32 v24, 1, v24
	v_lshlrev_b32_e32 v25, 1, v25
	v_lshlrev_b32_e32 v26, 1, v26
	v_lshlrev_b32_e32 v27, 1, v27
	v_lshlrev_b32_e32 v28, 1, v28
	s_wait_dscnt 0x1
	v_lshrrev_b32_e32 v11, 16, v8
	s_wait_dscnt 0x0
	v_lshrrev_b32_e32 v16, 16, v9
	v_add_f16_e32 v17, v8, v9
	v_sub_f16_e32 v8, v8, v9
	s_delay_alu instid0(VALU_DEP_3) | instskip(SKIP_3) | instid1(VALU_DEP_1)
	v_add_f16_e32 v9, v16, v11
	v_sub_f16_e32 v11, v11, v16
	s_wait_loadcnt 0x5
	v_lshrrev_b32_e32 v18, 16, v4
	v_fma_f16 v16, v8, v18, v17
	s_delay_alu instid0(VALU_DEP_3) | instskip(SKIP_2) | instid1(VALU_DEP_4)
	v_fma_f16 v19, v9, v18, v11
	v_fma_f16 v17, -v8, v18, v17
	v_fma_f16 v11, v9, v18, -v11
	v_fma_f16 v16, -v4, v9, v16
	s_delay_alu instid0(VALU_DEP_4) | instskip(NEXT) | instid1(VALU_DEP_4)
	v_fmac_f16_e32 v19, v8, v4
	v_fmac_f16_e32 v17, v4, v9
	s_delay_alu instid0(VALU_DEP_4) | instskip(NEXT) | instid1(VALU_DEP_3)
	v_fmac_f16_e32 v11, v8, v4
	v_pack_b32_f16 v4, v16, v19
	s_wait_loadcnt 0x4
	v_lshrrev_b32_e32 v16, 16, v12
	s_delay_alu instid0(VALU_DEP_3)
	v_pack_b32_f16 v8, v17, v11
	ds_store_b32 v0, v4 offset:224
	ds_store_b32 v10, v8 offset:2912
	ds_load_b32 v4, v0 offset:448
	ds_load_b32 v8, v10 offset:2688
	s_wait_dscnt 0x1
	v_lshrrev_b32_e32 v9, 16, v4
	s_wait_dscnt 0x0
	v_lshrrev_b32_e32 v11, 16, v8
	v_add_f16_e32 v17, v4, v8
	v_sub_f16_e32 v4, v4, v8
	s_delay_alu instid0(VALU_DEP_3) | instskip(SKIP_1) | instid1(VALU_DEP_3)
	v_add_f16_e32 v8, v11, v9
	v_sub_f16_e32 v9, v9, v11
	v_fma_f16 v11, v4, v16, v17
	v_fma_f16 v17, -v4, v16, v17
	s_delay_alu instid0(VALU_DEP_3) | instskip(SKIP_1) | instid1(VALU_DEP_4)
	v_fma_f16 v18, v8, v16, v9
	v_fma_f16 v9, v8, v16, -v9
	v_fma_f16 v11, -v12, v8, v11
	s_delay_alu instid0(VALU_DEP_4) | instskip(NEXT) | instid1(VALU_DEP_4)
	v_fmac_f16_e32 v17, v12, v8
	v_fmac_f16_e32 v18, v4, v12
	s_delay_alu instid0(VALU_DEP_4) | instskip(SKIP_2) | instid1(VALU_DEP_3)
	v_fmac_f16_e32 v9, v4, v12
	s_wait_loadcnt 0x3
	v_lshrrev_b32_e32 v12, 16, v13
	v_pack_b32_f16 v4, v11, v18
	s_delay_alu instid0(VALU_DEP_3)
	v_pack_b32_f16 v8, v17, v9
	ds_store_b32 v0, v4 offset:448
	ds_store_b32 v10, v8 offset:2688
	ds_load_b32 v4, v0 offset:672
	ds_load_b32 v8, v10 offset:2464
	s_wait_dscnt 0x1
	v_lshrrev_b32_e32 v9, 16, v4
	s_wait_dscnt 0x0
	v_lshrrev_b32_e32 v11, 16, v8
	v_add_f16_e32 v16, v4, v8
	v_sub_f16_e32 v4, v4, v8
	s_delay_alu instid0(VALU_DEP_3) | instskip(SKIP_1) | instid1(VALU_DEP_3)
	v_add_f16_e32 v8, v11, v9
	v_sub_f16_e32 v9, v9, v11
	v_fma_f16 v11, v4, v12, v16
	v_fma_f16 v16, -v4, v12, v16
	s_delay_alu instid0(VALU_DEP_3) | instskip(SKIP_1) | instid1(VALU_DEP_4)
	v_fma_f16 v17, v8, v12, v9
	v_fma_f16 v9, v8, v12, -v9
	v_fma_f16 v11, -v13, v8, v11
	s_delay_alu instid0(VALU_DEP_4) | instskip(SKIP_4) | instid1(VALU_DEP_2)
	v_fmac_f16_e32 v16, v13, v8
	s_wait_loadcnt 0x2
	v_lshrrev_b32_e32 v12, 16, v14
	v_fmac_f16_e32 v17, v4, v13
	v_fmac_f16_e32 v9, v4, v13
	v_pack_b32_f16 v4, v11, v17
	s_delay_alu instid0(VALU_DEP_2)
	v_pack_b32_f16 v8, v16, v9
	ds_store_b32 v0, v4 offset:672
	ds_store_b32 v10, v8 offset:2464
	ds_load_b32 v4, v0 offset:896
	ds_load_b32 v8, v10 offset:2240
	s_wait_dscnt 0x1
	v_lshrrev_b32_e32 v9, 16, v4
	s_wait_dscnt 0x0
	v_lshrrev_b32_e32 v11, 16, v8
	v_add_f16_e32 v13, v4, v8
	v_sub_f16_e32 v4, v4, v8
	s_delay_alu instid0(VALU_DEP_3) | instskip(SKIP_1) | instid1(VALU_DEP_3)
	v_add_f16_e32 v8, v11, v9
	v_sub_f16_e32 v9, v9, v11
	v_fma_f16 v11, v4, v12, v13
	v_fma_f16 v13, -v4, v12, v13
	s_delay_alu instid0(VALU_DEP_3) | instskip(SKIP_1) | instid1(VALU_DEP_4)
	v_fma_f16 v16, v8, v12, v9
	v_fma_f16 v9, v8, v12, -v9
	v_fma_f16 v11, -v14, v8, v11
	s_delay_alu instid0(VALU_DEP_4) | instskip(SKIP_4) | instid1(VALU_DEP_2)
	v_fmac_f16_e32 v13, v14, v8
	s_wait_loadcnt 0x1
	v_lshrrev_b32_e32 v12, 16, v15
	v_fmac_f16_e32 v16, v4, v14
	v_fmac_f16_e32 v9, v4, v14
	v_pack_b32_f16 v4, v11, v16
	s_delay_alu instid0(VALU_DEP_2)
	;; [unrolled: 28-line block ×3, first 2 shown]
	v_pack_b32_f16 v8, v13, v9
	ds_store_b32 v0, v4 offset:1120
	ds_store_b32 v10, v8 offset:2016
	ds_load_b32 v4, v0 offset:1344
	ds_load_b32 v8, v10 offset:1792
	s_wait_dscnt 0x1
	v_lshrrev_b32_e32 v9, 16, v4
	s_wait_dscnt 0x0
	v_lshrrev_b32_e32 v11, 16, v8
	v_add_f16_e32 v13, v4, v8
	v_sub_f16_e32 v4, v4, v8
	s_delay_alu instid0(VALU_DEP_3) | instskip(SKIP_1) | instid1(VALU_DEP_3)
	v_add_f16_e32 v8, v11, v9
	v_sub_f16_e32 v11, v9, v11
	v_fma_f16 v14, v4, v12, v13
	v_fma_f16 v13, -v4, v12, v13
	v_add_nc_u32_e32 v9, 56, v3
	s_delay_alu instid0(VALU_DEP_4)
	v_fma_f16 v15, v8, v12, v11
	v_fma_f16 v11, v8, v12, -v11
	v_fma_f16 v12, -v7, v8, v14
	v_fmac_f16_e32 v13, v7, v8
	v_add_nc_u32_e32 v8, 0x200, v0
	v_fmac_f16_e32 v15, v4, v7
	v_fmac_f16_e32 v11, v4, v7
	v_add_nc_u32_e32 v4, 0x400, v0
	v_add_nc_u32_e32 v7, 0x800, v0
	v_lshl_add_u32 v31, v9, 3, 0
	v_pack_b32_f16 v12, v12, v15
	v_pack_b32_f16 v11, v13, v11
	ds_store_b32 v0, v12 offset:1344
	ds_store_b32 v10, v11 offset:1792
	global_wb scope:SCOPE_SE
	s_wait_dscnt 0x0
	s_barrier_signal -1
	s_barrier_wait -1
	global_inv scope:SCOPE_SE
	global_wb scope:SCOPE_SE
	s_barrier_signal -1
	s_barrier_wait -1
	global_inv scope:SCOPE_SE
	ds_load_2addr_b32 v[10:11], v0 offset1:56
	ds_load_2addr_b32 v[12:13], v4 offset0:80 offset1:136
	ds_load_2addr_b32 v[14:15], v4 offset0:192 offset1:248
	;; [unrolled: 1-line block ×6, first 2 shown]
	global_wb scope:SCOPE_SE
	s_wait_dscnt 0x0
	s_barrier_signal -1
	s_barrier_wait -1
	global_inv scope:SCOPE_SE
	v_pk_add_f16 v13, v10, v13 neg_lo:[0,1] neg_hi:[0,1]
	v_pk_add_f16 v14, v11, v14 neg_lo:[0,1] neg_hi:[0,1]
	;; [unrolled: 1-line block ×7, first 2 shown]
	v_pk_fma_f16 v10, v10, 2.0, v13 op_sel_hi:[1,0,1] neg_lo:[0,0,1] neg_hi:[0,0,1]
	v_pk_fma_f16 v11, v11, 2.0, v14 op_sel_hi:[1,0,1] neg_lo:[0,0,1] neg_hi:[0,0,1]
	;; [unrolled: 1-line block ×7, first 2 shown]
	ds_store_2addr_b32 v29, v10, v13 offset1:1
	ds_store_2addr_b32 v31, v11, v14 offset1:1
	ds_store_2addr_b32 v32, v16, v15 offset1:1
	ds_store_2addr_b32 v33, v17, v18 offset1:1
	ds_store_2addr_b32 v34, v20, v19 offset1:1
	ds_store_2addr_b32 v35, v21, v22 offset1:1
	ds_store_2addr_b32 v36, v12, v23 offset1:1
	global_wb scope:SCOPE_SE
	s_wait_dscnt 0x0
	s_barrier_signal -1
	s_barrier_wait -1
	global_inv scope:SCOPE_SE
	global_load_b32 v29, v37, s[8:9]
	v_lshlrev_b32_e32 v31, 1, v3
	ds_load_2addr_b32 v[12:13], v7 offset0:48 offset1:104
	ds_load_2addr_b32 v[14:15], v4 offset0:192 offset1:248
	;; [unrolled: 1-line block ×3, first 2 shown]
	v_lshlrev_b32_e32 v33, 1, v9
	v_and_or_b32 v10, 0x7c, v31, v30
	v_and_or_b32 v19, 0x1fc, v24, v30
	;; [unrolled: 1-line block ×5, first 2 shown]
	v_lshl_add_u32 v35, v10, 2, 0
	ds_load_2addr_b32 v[10:11], v7 offset0:160 offset1:216
	v_and_or_b32 v22, 0x2fc, v27, v30
	v_and_or_b32 v23, 0x3fc, v28, v30
	v_lshl_add_u32 v30, v18, 2, 0
	v_lshl_add_u32 v36, v19, 2, 0
	;; [unrolled: 1-line block ×6, first 2 shown]
	ds_load_2addr_b32 v[18:19], v0 offset1:56
	ds_load_2addr_b32 v[20:21], v0 offset0:112 offset1:168
	ds_load_2addr_b32 v[22:23], v8 offset0:96 offset1:152
	v_and_b32_e32 v32, 3, v3
	global_wb scope:SCOPE_SE
	s_wait_loadcnt_dscnt 0x0
	s_barrier_signal -1
	s_barrier_wait -1
	global_inv scope:SCOPE_SE
	v_lshlrev_b32_e32 v34, 2, v32
	v_pk_mul_f16 v41, v29, v11 op_sel:[0,1]
	v_pk_mul_f16 v42, v29, v10 op_sel:[0,1]
	;; [unrolled: 1-line block ×7, first 2 shown]
	v_pk_fma_f16 v48, v29, v11, v41 op_sel:[0,0,1] op_sel_hi:[1,1,0]
	v_pk_fma_f16 v11, v29, v11, v41 op_sel:[0,0,1] op_sel_hi:[1,0,0] neg_lo:[1,0,0] neg_hi:[1,0,0]
	v_pk_fma_f16 v41, v29, v10, v42 op_sel:[0,0,1] op_sel_hi:[1,1,0]
	v_pk_fma_f16 v10, v29, v10, v42 op_sel:[0,0,1] op_sel_hi:[1,0,0] neg_lo:[1,0,0] neg_hi:[1,0,0]
	v_pk_fma_f16 v42, v29, v13, v43 op_sel:[0,0,1] op_sel_hi:[1,1,0]
	v_pk_fma_f16 v13, v29, v13, v43 op_sel:[0,0,1] op_sel_hi:[1,0,0] neg_lo:[1,0,0] neg_hi:[1,0,0]
	v_pk_fma_f16 v43, v29, v12, v44 op_sel:[0,0,1] op_sel_hi:[1,1,0]
	v_pk_fma_f16 v12, v29, v12, v44 op_sel:[0,0,1] op_sel_hi:[1,0,0] neg_lo:[1,0,0] neg_hi:[1,0,0]
	v_pk_fma_f16 v44, v29, v15, v45 op_sel:[0,0,1] op_sel_hi:[1,1,0]
	v_pk_fma_f16 v15, v29, v15, v45 op_sel:[0,0,1] op_sel_hi:[1,0,0] neg_lo:[1,0,0] neg_hi:[1,0,0]
	v_pk_fma_f16 v45, v29, v14, v46 op_sel:[0,0,1] op_sel_hi:[1,1,0]
	v_pk_fma_f16 v14, v29, v14, v46 op_sel:[0,0,1] op_sel_hi:[1,0,0] neg_lo:[1,0,0] neg_hi:[1,0,0]
	v_pk_fma_f16 v46, v29, v17, v47 op_sel:[0,0,1] op_sel_hi:[1,1,0]
	v_pk_fma_f16 v17, v29, v17, v47 op_sel:[0,0,1] op_sel_hi:[1,0,0] neg_lo:[1,0,0] neg_hi:[1,0,0]
	v_bfi_b32 v15, 0xffff, v44, v15
	v_bfi_b32 v12, 0xffff, v43, v12
	v_bfi_b32 v14, 0xffff, v45, v14
	v_bfi_b32 v13, 0xffff, v42, v13
	v_bfi_b32 v17, 0xffff, v46, v17
	v_bfi_b32 v11, 0xffff, v48, v11
	v_bfi_b32 v10, 0xffff, v41, v10
	v_pk_add_f16 v14, v19, v14 neg_lo:[0,1] neg_hi:[0,1]
	v_pk_add_f16 v15, v20, v15 neg_lo:[0,1] neg_hi:[0,1]
	;; [unrolled: 1-line block ×7, first 2 shown]
	v_pk_fma_f16 v18, v18, 2.0, v17 op_sel_hi:[1,0,1] neg_lo:[0,0,1] neg_hi:[0,0,1]
	v_pk_fma_f16 v19, v19, 2.0, v14 op_sel_hi:[1,0,1] neg_lo:[0,0,1] neg_hi:[0,0,1]
	;; [unrolled: 1-line block ×7, first 2 shown]
	ds_store_2addr_b32 v35, v18, v17 offset1:2
	ds_store_2addr_b32 v30, v19, v14 offset1:2
	;; [unrolled: 1-line block ×7, first 2 shown]
	global_wb scope:SCOPE_SE
	s_wait_dscnt 0x0
	s_barrier_signal -1
	s_barrier_wait -1
	global_inv scope:SCOPE_SE
	global_load_b32 v29, v34, s[8:9] offset:8
	v_and_or_b32 v10, 0x78, v31, v32
	ds_load_2addr_b32 v[12:13], v7 offset0:48 offset1:104
	ds_load_2addr_b32 v[14:15], v4 offset0:192 offset1:248
	;; [unrolled: 1-line block ×3, first 2 shown]
	v_and_or_b32 v18, 0xf8, v33, v32
	v_lshl_add_u32 v35, v10, 2, 0
	ds_load_2addr_b32 v[10:11], v7 offset0:160 offset1:216
	v_and_or_b32 v19, 0x1f8, v24, v32
	v_and_or_b32 v20, 0x1f8, v25, v32
	;; [unrolled: 1-line block ×5, first 2 shown]
	v_lshl_add_u32 v32, v18, 2, 0
	v_lshl_add_u32 v36, v19, 2, 0
	;; [unrolled: 1-line block ×6, first 2 shown]
	ds_load_2addr_b32 v[18:19], v0 offset1:56
	ds_load_2addr_b32 v[20:21], v0 offset0:112 offset1:168
	ds_load_2addr_b32 v[22:23], v8 offset0:96 offset1:152
	v_and_b32_e32 v30, 7, v3
	global_wb scope:SCOPE_SE
	s_wait_loadcnt_dscnt 0x0
	s_barrier_signal -1
	s_barrier_wait -1
	global_inv scope:SCOPE_SE
	v_lshlrev_b32_e32 v34, 2, v30
	v_pk_mul_f16 v41, v29, v11 op_sel:[0,1]
	v_pk_mul_f16 v42, v29, v10 op_sel:[0,1]
	;; [unrolled: 1-line block ×7, first 2 shown]
	v_pk_fma_f16 v48, v29, v11, v41 op_sel:[0,0,1] op_sel_hi:[1,1,0]
	v_pk_fma_f16 v11, v29, v11, v41 op_sel:[0,0,1] op_sel_hi:[1,0,0] neg_lo:[1,0,0] neg_hi:[1,0,0]
	v_pk_fma_f16 v41, v29, v10, v42 op_sel:[0,0,1] op_sel_hi:[1,1,0]
	v_pk_fma_f16 v10, v29, v10, v42 op_sel:[0,0,1] op_sel_hi:[1,0,0] neg_lo:[1,0,0] neg_hi:[1,0,0]
	;; [unrolled: 2-line block ×7, first 2 shown]
	v_bfi_b32 v15, 0xffff, v44, v15
	v_bfi_b32 v12, 0xffff, v43, v12
	;; [unrolled: 1-line block ×7, first 2 shown]
	v_pk_add_f16 v14, v19, v14 neg_lo:[0,1] neg_hi:[0,1]
	v_pk_add_f16 v15, v20, v15 neg_lo:[0,1] neg_hi:[0,1]
	;; [unrolled: 1-line block ×7, first 2 shown]
	v_pk_fma_f16 v18, v18, 2.0, v17 op_sel_hi:[1,0,1] neg_lo:[0,0,1] neg_hi:[0,0,1]
	v_pk_fma_f16 v19, v19, 2.0, v14 op_sel_hi:[1,0,1] neg_lo:[0,0,1] neg_hi:[0,0,1]
	;; [unrolled: 1-line block ×7, first 2 shown]
	ds_store_2addr_b32 v35, v18, v17 offset1:4
	ds_store_2addr_b32 v32, v19, v14 offset1:4
	;; [unrolled: 1-line block ×7, first 2 shown]
	global_wb scope:SCOPE_SE
	s_wait_dscnt 0x0
	s_barrier_signal -1
	s_barrier_wait -1
	global_inv scope:SCOPE_SE
	global_load_b32 v29, v34, s[8:9] offset:24
	v_and_b32_e32 v34, 15, v3
	v_and_or_b32 v10, 0x70, v31, v30
	v_and_or_b32 v19, 0x1f0, v24, v30
	ds_load_2addr_b32 v[12:13], v7 offset0:48 offset1:104
	ds_load_2addr_b32 v[16:17], v4 offset0:80 offset1:136
	v_mul_u32_u24_e32 v14, 6, v34
	v_lshl_add_u32 v31, v10, 2, 0
	ds_load_2addr_b32 v[10:11], v7 offset0:160 offset1:216
	v_and_or_b32 v18, 0xf0, v33, v30
	v_and_or_b32 v20, 0x1f0, v25, v30
	v_lshlrev_b32_e32 v24, 2, v14
	ds_load_2addr_b32 v[14:15], v4 offset0:192 offset1:248
	v_and_or_b32 v21, 0x3f0, v26, v30
	v_and_or_b32 v22, 0x2f0, v27, v30
	;; [unrolled: 1-line block ×3, first 2 shown]
	v_lshl_add_u32 v26, v18, 2, 0
	v_lshl_add_u32 v27, v19, 2, 0
	;; [unrolled: 1-line block ×6, first 2 shown]
	ds_load_2addr_b32 v[18:19], v0 offset1:56
	ds_load_2addr_b32 v[20:21], v0 offset0:112 offset1:168
	ds_load_2addr_b32 v[22:23], v8 offset0:96 offset1:152
	v_and_b32_e32 v35, 15, v9
	global_wb scope:SCOPE_SE
	s_wait_loadcnt_dscnt 0x0
	s_barrier_signal -1
	s_barrier_wait -1
	global_inv scope:SCOPE_SE
	v_mul_u32_u24_e32 v25, 6, v35
	v_lshrrev_b32_e32 v9, 4, v9
	s_delay_alu instid0(VALU_DEP_1) | instskip(NEXT) | instid1(VALU_DEP_1)
	v_mul_u32_u24_e32 v9, 0x70, v9
	v_or_b32_e32 v9, v9, v35
	s_delay_alu instid0(VALU_DEP_1)
	v_lshl_add_u32 v9, v9, 2, 0
	v_pk_mul_f16 v36, v29, v11 op_sel:[0,1]
	v_pk_mul_f16 v37, v29, v10 op_sel:[0,1]
	;; [unrolled: 1-line block ×7, first 2 shown]
	v_pk_fma_f16 v43, v29, v11, v36 op_sel:[0,0,1] op_sel_hi:[1,1,0]
	v_pk_fma_f16 v11, v29, v11, v36 op_sel:[0,0,1] op_sel_hi:[1,0,0] neg_lo:[1,0,0] neg_hi:[1,0,0]
	v_pk_fma_f16 v36, v29, v10, v37 op_sel:[0,0,1] op_sel_hi:[1,1,0]
	v_pk_fma_f16 v10, v29, v10, v37 op_sel:[0,0,1] op_sel_hi:[1,0,0] neg_lo:[1,0,0] neg_hi:[1,0,0]
	;; [unrolled: 2-line block ×7, first 2 shown]
	v_bfi_b32 v15, 0xffff, v39, v15
	v_bfi_b32 v12, 0xffff, v38, v12
	;; [unrolled: 1-line block ×7, first 2 shown]
	v_pk_add_f16 v14, v19, v14 neg_lo:[0,1] neg_hi:[0,1]
	v_pk_add_f16 v15, v20, v15 neg_lo:[0,1] neg_hi:[0,1]
	;; [unrolled: 1-line block ×7, first 2 shown]
	v_pk_fma_f16 v18, v18, 2.0, v17 op_sel_hi:[1,0,1] neg_lo:[0,0,1] neg_hi:[0,0,1]
	v_pk_fma_f16 v19, v19, 2.0, v14 op_sel_hi:[1,0,1] neg_lo:[0,0,1] neg_hi:[0,0,1]
	;; [unrolled: 1-line block ×7, first 2 shown]
	ds_store_2addr_b32 v31, v18, v17 offset1:8
	ds_store_2addr_b32 v26, v19, v14 offset1:8
	ds_store_2addr_b32 v27, v20, v15 offset1:8
	ds_store_2addr_b32 v28, v21, v12 offset1:8
	ds_store_2addr_b32 v30, v22, v13 offset1:8
	ds_store_2addr_b32 v32, v23, v10 offset1:8
	ds_store_2addr_b32 v33, v16, v11 offset1:8
	v_lshlrev_b32_e32 v20, 2, v25
	global_wb scope:SCOPE_SE
	s_wait_dscnt 0x0
	s_barrier_signal -1
	s_barrier_wait -1
	global_inv scope:SCOPE_SE
	s_clause 0x3
	global_load_b128 v[10:13], v24, s[8:9] offset:56
	global_load_b64 v[18:19], v24, s[8:9] offset:72
	global_load_b128 v[14:17], v20, s[8:9] offset:56
	global_load_b64 v[20:21], v20, s[8:9] offset:72
	v_lshrrev_b32_e32 v22, 4, v3
	v_mul_u32_u24_e32 v37, 6, v3
	s_delay_alu instid0(VALU_DEP_2)
	v_mul_u32_u24_e32 v36, 0x70, v22
	ds_load_2addr_b32 v[22:23], v7 offset0:160 offset1:216
	ds_load_2addr_b32 v[24:25], v0 offset0:112 offset1:168
	;; [unrolled: 1-line block ×6, first 2 shown]
	v_lshlrev_b32_e32 v37, 2, v37
	v_or_b32_e32 v36, v36, v34
	ds_load_2addr_b32 v[34:35], v0 offset1:56
	global_wb scope:SCOPE_SE
	s_wait_loadcnt_dscnt 0x0
	s_barrier_signal -1
	s_barrier_wait -1
	v_lshl_add_u32 v36, v36, 2, 0
	global_inv scope:SCOPE_SE
	v_lshrrev_b32_e32 v38, 16, v22
	v_lshrrev_b32_e32 v45, 16, v24
	;; [unrolled: 1-line block ×26, first 2 shown]
	v_mul_f16_e32 v64, v52, v45
	v_mul_f16_e32 v52, v52, v24
	v_mul_f16_e32 v65, v53, v46
	v_mul_f16_e32 v53, v53, v26
	v_mul_f16_e32 v68, v56, v49
	v_mul_f16_e32 v56, v56, v32
	v_mul_f16_e32 v69, v38, v57
	v_mul_f16_e32 v57, v22, v57
	v_mul_f16_e32 v66, v54, v47
	v_mul_f16_e32 v54, v54, v28
	v_mul_f16_e32 v67, v55, v48
	v_mul_f16_e32 v55, v55, v30
	v_mul_f16_e32 v70, v39, v58
	v_mul_f16_e32 v58, v25, v58
	v_mul_f16_e32 v71, v40, v59
	v_mul_f16_e32 v59, v27, v59
	v_mul_f16_e32 v74, v43, v62
	v_mul_f16_e32 v62, v33, v62
	v_mul_f16_e32 v75, v44, v63
	v_mul_f16_e32 v63, v23, v63
	v_mul_f16_e32 v72, v41, v60
	v_mul_f16_e32 v60, v29, v60
	v_mul_f16_e32 v73, v42, v61
	v_mul_f16_e32 v61, v31, v61
	v_fmac_f16_e32 v64, v10, v24
	v_fma_f16 v10, v10, v45, -v52
	v_fmac_f16_e32 v65, v11, v26
	v_fma_f16 v11, v11, v46, -v53
	;; [unrolled: 2-line block ×12, first 2 shown]
	v_add_f16_e32 v22, v64, v69
	v_add_f16_e32 v23, v10, v19
	v_sub_f16_e32 v10, v10, v19
	v_add_f16_e32 v19, v65, v68
	v_add_f16_e32 v25, v11, v18
	v_sub_f16_e32 v26, v65, v68
	v_sub_f16_e32 v11, v11, v18
	v_add_f16_e32 v18, v66, v67
	v_add_f16_e32 v27, v12, v13
	v_sub_f16_e32 v28, v67, v66
	;; [unrolled: 4-line block ×3, first 2 shown]
	v_add_f16_e32 v21, v71, v74
	v_add_f16_e32 v31, v15, v20
	;; [unrolled: 1-line block ×3, first 2 shown]
	v_sub_f16_e32 v16, v17, v16
	v_add_f16_e32 v17, v19, v22
	v_add_f16_e32 v39, v25, v23
	v_sub_f16_e32 v24, v64, v69
	v_sub_f16_e32 v30, v70, v75
	;; [unrolled: 1-line block ×5, first 2 shown]
	v_add_f16_e32 v20, v72, v73
	v_sub_f16_e32 v40, v19, v22
	v_sub_f16_e32 v41, v25, v23
	;; [unrolled: 1-line block ×6, first 2 shown]
	v_add_f16_e32 v42, v28, v26
	v_add_f16_e32 v43, v12, v11
	v_sub_f16_e32 v44, v28, v26
	v_sub_f16_e32 v45, v12, v11
	;; [unrolled: 1-line block ×3, first 2 shown]
	v_add_f16_e32 v46, v21, v13
	v_add_f16_e32 v47, v31, v29
	;; [unrolled: 1-line block ×4, first 2 shown]
	v_sub_f16_e32 v26, v26, v24
	v_add_f16_e32 v52, v38, v32
	v_sub_f16_e32 v54, v38, v32
	v_sub_f16_e32 v32, v32, v30
	;; [unrolled: 1-line block ×10, first 2 shown]
	v_add_f16_e32 v53, v16, v15
	v_sub_f16_e32 v55, v16, v15
	v_sub_f16_e32 v15, v15, v14
	v_add_f16_e32 v24, v42, v24
	v_add_f16_e32 v10, v43, v10
	v_mul_f16_e32 v22, 0x3a52, v22
	v_mul_f16_e32 v23, 0x3a52, v23
	;; [unrolled: 1-line block ×7, first 2 shown]
	v_add_f16_e32 v20, v20, v46
	v_add_f16_e32 v33, v33, v47
	;; [unrolled: 1-line block ×4, first 2 shown]
	v_sub_f16_e32 v38, v30, v38
	v_mul_f16_e32 v44, 0xbb00, v26
	v_add_f16_e32 v30, v52, v30
	v_mul_f16_e32 v52, 0x3846, v54
	v_mul_f16_e32 v54, 0xbb00, v32
	v_sub_f16_e32 v16, v14, v16
	v_add_f16_e32 v14, v53, v14
	v_mul_f16_e32 v13, 0x3a52, v13
	v_mul_f16_e32 v29, 0x3a52, v29
	;; [unrolled: 1-line block ×6, first 2 shown]
	v_fmamk_f16 v19, v19, 0x2b26, v22
	v_fmamk_f16 v25, v25, 0x2b26, v23
	v_fma_f16 v27, v40, 0x39e0, -v27
	v_fma_f16 v39, v41, 0x39e0, -v39
	;; [unrolled: 1-line block ×4, first 2 shown]
	v_fmamk_f16 v40, v28, 0xb574, v42
	v_fmamk_f16 v41, v12, 0xb574, v43
	v_fma_f16 v26, v26, 0xbb00, -v42
	v_fma_f16 v11, v11, 0xbb00, -v43
	;; [unrolled: 1-line block ×3, first 2 shown]
	v_add_f16_e32 v35, v20, v35
	v_add_f16_e32 v42, v33, v51
	v_fmamk_f16 v17, v17, 0xbcab, v34
	v_fmamk_f16 v18, v18, 0xbcab, v50
	v_fma_f16 v28, v28, 0x3574, -v44
	v_fmamk_f16 v45, v38, 0xb574, v52
	v_fma_f16 v32, v32, 0xbb00, -v52
	v_fma_f16 v38, v38, 0x3574, -v54
	v_fmamk_f16 v21, v21, 0x2b26, v13
	v_fmamk_f16 v31, v31, 0x2b26, v29
	v_fma_f16 v43, v48, 0x39e0, -v46
	v_fma_f16 v44, v49, 0x39e0, -v47
	;; [unrolled: 1-line block ×4, first 2 shown]
	v_fmamk_f16 v46, v16, 0xb574, v53
	v_fma_f16 v15, v15, 0xbb00, -v53
	v_fma_f16 v16, v16, 0x3574, -v55
	v_fmac_f16_e32 v41, 0xb70e, v10
	v_fmac_f16_e32 v11, 0xb70e, v10
	;; [unrolled: 1-line block ×3, first 2 shown]
	v_fmamk_f16 v10, v20, 0xbcab, v35
	v_fmamk_f16 v20, v33, 0xbcab, v42
	v_fmac_f16_e32 v40, 0xb70e, v24
	v_add_f16_e32 v19, v19, v17
	v_add_f16_e32 v25, v25, v18
	v_fmac_f16_e32 v26, 0xb70e, v24
	v_fmac_f16_e32 v28, 0xb70e, v24
	;; [unrolled: 1-line block ×5, first 2 shown]
	v_add_f16_e32 v27, v27, v17
	v_add_f16_e32 v30, v39, v18
	;; [unrolled: 1-line block ×4, first 2 shown]
	v_fmac_f16_e32 v46, 0xb70e, v14
	v_fmac_f16_e32 v15, 0xb70e, v14
	;; [unrolled: 1-line block ×3, first 2 shown]
	v_add_f16_e32 v21, v21, v10
	v_add_f16_e32 v22, v31, v20
	;; [unrolled: 1-line block ×7, first 2 shown]
	v_sub_f16_e32 v29, v25, v40
	v_pack_b32_f16 v14, v34, v50
	v_pack_b32_f16 v24, v35, v42
	v_add_f16_e32 v33, v12, v17
	v_sub_f16_e32 v34, v18, v28
	v_sub_f16_e32 v35, v27, v11
	v_add_f16_e32 v39, v26, v30
	v_add_f16_e32 v11, v11, v27
	v_sub_f16_e32 v26, v30, v26
	v_sub_f16_e32 v12, v17, v12
	v_add_f16_e32 v17, v28, v18
	v_sub_f16_e32 v18, v19, v41
	v_add_f16_e32 v19, v40, v25
	v_add_f16_e32 v25, v46, v21
	v_sub_f16_e32 v27, v22, v45
	v_add_f16_e32 v28, v16, v10
	v_sub_f16_e32 v30, v13, v38
	v_sub_f16_e32 v40, v23, v15
	v_add_f16_e32 v15, v15, v23
	v_sub_f16_e32 v23, v31, v32
	;; [unrolled: 3-line block ×3, first 2 shown]
	v_add_f16_e32 v21, v45, v22
	v_add_f16_e32 v41, v32, v31
	v_pack_b32_f16 v20, v20, v29
	v_pack_b32_f16 v22, v33, v34
	;; [unrolled: 1-line block ×12, first 2 shown]
	ds_store_2addr_b32 v36, v14, v20 offset1:16
	ds_store_2addr_b32 v36, v22, v29 offset0:32 offset1:48
	ds_store_2addr_b32 v36, v11, v12 offset0:64 offset1:80
	ds_store_b32 v36, v17 offset:384
	ds_store_2addr_b32 v9, v24, v18 offset1:16
	ds_store_2addr_b32 v9, v19, v25 offset0:32 offset1:48
	ds_store_2addr_b32 v9, v15, v10 offset0:64 offset1:80
	ds_store_b32 v9, v13 offset:384
	global_wb scope:SCOPE_SE
	s_wait_dscnt 0x0
	s_barrier_signal -1
	s_barrier_wait -1
	global_inv scope:SCOPE_SE
	s_clause 0x3
	global_load_b128 v[9:12], v37, s[8:9] offset:440
	global_load_b64 v[17:18], v37, s[8:9] offset:456
	global_load_b128 v[13:16], v37, s[8:9] offset:1784
	global_load_b64 v[19:20], v37, s[8:9] offset:1800
	ds_load_2addr_b32 v[21:22], v7 offset0:160 offset1:216
	ds_load_2addr_b32 v[23:24], v0 offset0:112 offset1:168
	;; [unrolled: 1-line block ×6, first 2 shown]
	ds_load_2addr_b32 v[33:34], v0 offset1:56
	global_wb scope:SCOPE_SE
	s_wait_loadcnt_dscnt 0x0
	s_barrier_signal -1
	s_barrier_wait -1
	global_inv scope:SCOPE_SE
	v_lshrrev_b32_e32 v35, 16, v21
	v_lshrrev_b32_e32 v36, 16, v24
	;; [unrolled: 1-line block ×26, first 2 shown]
	v_mul_f16_e32 v61, v49, v42
	v_mul_f16_e32 v49, v49, v23
	;; [unrolled: 1-line block ×24, first 2 shown]
	v_fmac_f16_e32 v61, v9, v23
	v_fma_f16 v9, v9, v42, -v49
	v_fmac_f16_e32 v62, v10, v25
	v_fma_f16 v10, v10, v43, -v50
	;; [unrolled: 2-line block ×12, first 2 shown]
	v_add_f16_e32 v21, v61, v66
	v_add_f16_e32 v22, v9, v18
	v_sub_f16_e32 v9, v9, v18
	v_add_f16_e32 v18, v62, v65
	v_add_f16_e32 v24, v10, v17
	v_sub_f16_e32 v25, v62, v65
	v_sub_f16_e32 v10, v10, v17
	v_add_f16_e32 v17, v63, v64
	v_add_f16_e32 v26, v11, v12
	v_sub_f16_e32 v27, v64, v63
	;; [unrolled: 4-line block ×3, first 2 shown]
	v_add_f16_e32 v20, v68, v71
	v_add_f16_e32 v30, v14, v19
	v_sub_f16_e32 v23, v61, v66
	v_sub_f16_e32 v29, v67, v72
	;; [unrolled: 1-line block ×4, first 2 shown]
	v_add_f16_e32 v19, v69, v70
	v_add_f16_e32 v32, v15, v16
	v_sub_f16_e32 v35, v70, v69
	v_sub_f16_e32 v15, v16, v15
	v_add_f16_e32 v16, v18, v21
	v_add_f16_e32 v36, v24, v22
	v_sub_f16_e32 v37, v18, v21
	v_sub_f16_e32 v38, v24, v22
	;; [unrolled: 1-line block ×6, first 2 shown]
	v_add_f16_e32 v39, v27, v25
	v_add_f16_e32 v40, v11, v10
	v_sub_f16_e32 v41, v27, v25
	v_sub_f16_e32 v42, v11, v10
	;; [unrolled: 1-line block ×3, first 2 shown]
	v_add_f16_e32 v43, v20, v12
	v_add_f16_e32 v44, v30, v28
	v_sub_f16_e32 v27, v23, v27
	v_sub_f16_e32 v11, v9, v11
	v_sub_f16_e32 v25, v25, v23
	v_sub_f16_e32 v45, v20, v12
	v_sub_f16_e32 v46, v30, v28
	v_sub_f16_e32 v12, v12, v19
	v_sub_f16_e32 v28, v28, v32
	v_sub_f16_e32 v20, v19, v20
	v_sub_f16_e32 v30, v32, v30
	v_add_f16_e32 v49, v35, v31
	v_add_f16_e32 v50, v15, v14
	v_sub_f16_e32 v51, v35, v31
	v_sub_f16_e32 v52, v15, v14
	;; [unrolled: 1-line block ×4, first 2 shown]
	v_add_f16_e32 v16, v17, v16
	v_add_f16_e32 v17, v26, v36
	;; [unrolled: 1-line block ×4, first 2 shown]
	v_mul_f16_e32 v21, 0x3a52, v21
	v_mul_f16_e32 v22, 0x3a52, v22
	;; [unrolled: 1-line block ×7, first 2 shown]
	v_add_f16_e32 v19, v19, v43
	v_add_f16_e32 v32, v32, v44
	v_sub_f16_e32 v35, v29, v35
	v_sub_f16_e32 v15, v13, v15
	v_mul_f16_e32 v41, 0xbb00, v25
	v_add_f16_e32 v29, v49, v29
	v_add_f16_e32 v13, v50, v13
	v_mul_f16_e32 v12, 0x3a52, v12
	v_mul_f16_e32 v28, 0x3a52, v28
	;; [unrolled: 1-line block ×7, first 2 shown]
	v_add_f16_e32 v33, v16, v33
	v_add_f16_e32 v47, v17, v47
	v_fmamk_f16 v18, v18, 0x2b26, v21
	v_fmamk_f16 v24, v24, 0x2b26, v22
	v_fma_f16 v26, v37, 0x39e0, -v26
	v_fma_f16 v36, v38, 0x39e0, -v36
	;; [unrolled: 1-line block ×4, first 2 shown]
	v_fmamk_f16 v37, v27, 0xb574, v39
	v_fmamk_f16 v38, v11, 0xb574, v40
	v_fma_f16 v25, v25, 0xbb00, -v39
	v_fma_f16 v10, v10, 0xbb00, -v40
	;; [unrolled: 1-line block ×3, first 2 shown]
	v_add_f16_e32 v34, v19, v34
	v_add_f16_e32 v39, v32, v48
	v_mul_f16_e32 v44, 0x2b26, v30
	v_fma_f16 v27, v27, 0x3574, -v41
	v_fmamk_f16 v20, v20, 0x2b26, v12
	v_fmamk_f16 v30, v30, 0x2b26, v28
	v_fma_f16 v40, v45, 0x39e0, -v43
	v_fmamk_f16 v42, v35, 0xb574, v49
	v_fmamk_f16 v43, v15, 0xb574, v50
	v_fma_f16 v31, v31, 0xbb00, -v49
	v_fma_f16 v14, v14, 0xbb00, -v50
	;; [unrolled: 1-line block ×4, first 2 shown]
	v_fmamk_f16 v16, v16, 0xbcab, v33
	v_fmamk_f16 v17, v17, 0xbcab, v47
	v_fmac_f16_e32 v38, 0xb70e, v9
	v_fmac_f16_e32 v10, 0xb70e, v9
	;; [unrolled: 1-line block ×3, first 2 shown]
	v_fmamk_f16 v9, v19, 0xbcab, v34
	v_fmamk_f16 v19, v32, 0xbcab, v39
	v_fma_f16 v12, v45, 0xb9e0, -v12
	v_fma_f16 v28, v46, 0xb9e0, -v28
	;; [unrolled: 1-line block ×3, first 2 shown]
	v_fmac_f16_e32 v37, 0xb70e, v23
	v_fmac_f16_e32 v25, 0xb70e, v23
	v_fmac_f16_e32 v27, 0xb70e, v23
	v_fmac_f16_e32 v42, 0xb70e, v29
	v_fmac_f16_e32 v43, 0xb70e, v13
	v_fmac_f16_e32 v31, 0xb70e, v29
	v_fmac_f16_e32 v14, 0xb70e, v13
	v_fmac_f16_e32 v35, 0xb70e, v29
	v_fmac_f16_e32 v15, 0xb70e, v13
	v_pack_b32_f16 v13, v33, v47
	v_pack_b32_f16 v23, v34, v39
	v_add_f16_e32 v18, v18, v16
	v_add_f16_e32 v24, v24, v17
	;; [unrolled: 1-line block ×12, first 2 shown]
	ds_store_2addr_b32 v0, v13, v23 offset1:56
	v_add_f16_e32 v13, v38, v18
	v_sub_f16_e32 v19, v24, v37
	v_add_f16_e32 v23, v11, v16
	v_sub_f16_e32 v28, v17, v27
	v_sub_f16_e32 v32, v26, v10
	v_add_f16_e32 v10, v10, v26
	v_sub_f16_e32 v11, v16, v11
	v_add_f16_e32 v16, v27, v17
	v_sub_f16_e32 v17, v18, v38
	v_add_f16_e32 v18, v37, v24
	v_add_f16_e32 v24, v43, v20
	v_sub_f16_e32 v26, v21, v42
	v_add_f16_e32 v33, v25, v29
	v_sub_f16_e32 v25, v29, v25
	;; [unrolled: 2-line block ×3, first 2 shown]
	v_sub_f16_e32 v34, v22, v14
	v_add_f16_e32 v36, v31, v30
	v_add_f16_e32 v14, v14, v22
	v_sub_f16_e32 v22, v30, v31
	v_sub_f16_e32 v9, v9, v15
	v_add_f16_e32 v12, v35, v12
	v_sub_f16_e32 v15, v20, v43
	v_add_f16_e32 v20, v42, v21
	v_pack_b32_f16 v13, v13, v19
	v_pack_b32_f16 v11, v11, v16
	;; [unrolled: 1-line block ×12, first 2 shown]
	ds_store_2addr_b32 v0, v13, v17 offset0:112 offset1:168
	ds_store_2addr_b32 v8, v19, v18 offset0:96 offset1:152
	;; [unrolled: 1-line block ×6, first 2 shown]
	global_wb scope:SCOPE_SE
	s_wait_dscnt 0x0
	s_barrier_signal -1
	s_barrier_wait -1
	global_inv scope:SCOPE_SE
	s_and_saveexec_b32 s0, vcc_lo
	s_cbranch_execz .LBB0_21
; %bb.20:
	v_mul_lo_u32 v0, s3, v5
	v_mul_lo_u32 v7, s2, v6
	v_mad_co_u64_u32 v[5:6], null, s2, v5, 0
	v_mov_b32_e32 v4, 0
	v_lshl_add_u32 v29, v3, 2, 0
	v_add_nc_u32_e32 v21, 0x150, v3
	v_add_nc_u32_e32 v25, 0x188, v3
	;; [unrolled: 1-line block ×4, first 2 shown]
	v_add3_u32 v6, v6, v7, v0
	v_add_nc_u32_e32 v7, 56, v3
	v_lshlrev_b64_e32 v[0:1], 2, v[1:2]
	v_dual_mov_b32 v8, v4 :: v_dual_add_nc_u32 v9, 0x70, v3
	s_delay_alu instid0(VALU_DEP_4)
	v_lshlrev_b64_e32 v[5:6], 2, v[5:6]
	v_lshlrev_b64_e32 v[15:16], 2, v[3:4]
	v_dual_mov_b32 v10, v4 :: v_dual_add_nc_u32 v11, 0xa8, v3
	ds_load_2addr_b32 v[13:14], v29 offset1:56
	v_mov_b32_e32 v20, v4
	v_add_co_u32 v2, vcc_lo, s6, v5
	s_wait_alu 0xfffd
	v_add_co_ci_u32_e32 v12, vcc_lo, s7, v6, vcc_lo
	v_lshlrev_b64_e32 v[5:6], 2, v[7:8]
	s_delay_alu instid0(VALU_DEP_3) | instskip(SKIP_1) | instid1(VALU_DEP_3)
	v_add_co_u32 v30, vcc_lo, v2, v0
	s_wait_alu 0xfffd
	v_add_co_ci_u32_e32 v31, vcc_lo, v12, v1, vcc_lo
	v_mov_b32_e32 v12, v4
	s_delay_alu instid0(VALU_DEP_3)
	v_add_co_u32 v7, vcc_lo, v30, v15
	v_add_nc_u32_e32 v15, 0xe0, v3
	v_add_nc_u32_e32 v2, 0x200, v29
	v_lshlrev_b64_e32 v[0:1], 2, v[9:10]
	s_wait_alu 0xfffd
	v_add_co_ci_u32_e32 v8, vcc_lo, v31, v16, vcc_lo
	v_mov_b32_e32 v16, v4
	v_add_co_u32 v5, vcc_lo, v30, v5
	v_lshlrev_b64_e32 v[11:12], 2, v[11:12]
	ds_load_2addr_b32 v[17:18], v2 offset0:96 offset1:152
	v_add_nc_u32_e32 v2, 0x400, v29
	s_wait_alu 0xfffd
	v_add_co_ci_u32_e32 v6, vcc_lo, v31, v6, vcc_lo
	ds_load_2addr_b32 v[9:10], v29 offset0:112 offset1:168
	v_add_co_u32 v0, vcc_lo, v30, v0
	v_lshlrev_b64_e32 v[15:16], 2, v[15:16]
	v_mov_b32_e32 v22, v4
	s_wait_alu 0xfffd
	v_add_co_ci_u32_e32 v1, vcc_lo, v31, v1, vcc_lo
	v_add_co_u32 v11, vcc_lo, v30, v11
	v_lshlrev_b64_e32 v[19:20], 2, v[19:20]
	ds_load_2addr_b32 v[23:24], v2 offset0:80 offset1:136
	v_mov_b32_e32 v26, v4
	s_wait_alu 0xfffd
	v_add_co_ci_u32_e32 v12, vcc_lo, v31, v12, vcc_lo
	v_add_co_u32 v15, vcc_lo, v30, v15
	v_lshlrev_b64_e32 v[21:22], 2, v[21:22]
	s_wait_alu 0xfffd
	v_add_co_ci_u32_e32 v16, vcc_lo, v31, v16, vcc_lo
	v_add_co_u32 v19, vcc_lo, v30, v19
	v_lshlrev_b64_e32 v[25:26], 2, v[25:26]
	s_wait_alu 0xfffd
	v_add_co_ci_u32_e32 v20, vcc_lo, v31, v20, vcc_lo
	v_add_co_u32 v21, vcc_lo, v30, v21
	s_wait_alu 0xfffd
	v_add_co_ci_u32_e32 v22, vcc_lo, v31, v22, vcc_lo
	v_mov_b32_e32 v28, v4
	v_add_co_u32 v25, vcc_lo, v30, v25
	s_wait_alu 0xfffd
	v_add_co_ci_u32_e32 v26, vcc_lo, v31, v26, vcc_lo
	s_wait_dscnt 0x3
	s_clause 0x1
	global_store_b32 v[7:8], v13, off
	global_store_b32 v[5:6], v14, off
	s_wait_dscnt 0x1
	s_clause 0x3
	global_store_b32 v[0:1], v9, off
	global_store_b32 v[11:12], v10, off
	;; [unrolled: 1-line block ×4, first 2 shown]
	s_wait_dscnt 0x0
	s_clause 0x1
	global_store_b32 v[21:22], v23, off
	global_store_b32 v[25:26], v24, off
	v_dual_mov_b32 v6, v4 :: v_dual_add_nc_u32 v5, 0x1f8, v3
	v_add_nc_u32_e32 v9, 0x230, v3
	v_lshlrev_b64_e32 v[27:28], 2, v[27:28]
	ds_load_2addr_b32 v[0:1], v2 offset0:192 offset1:248
	v_add_nc_u32_e32 v2, 0x800, v29
	v_dual_mov_b32 v10, v4 :: v_dual_add_nc_u32 v11, 0x268, v3
	v_lshlrev_b64_e32 v[5:6], 2, v[5:6]
	v_dual_mov_b32 v12, v4 :: v_dual_add_nc_u32 v15, 0x2a0, v3
	ds_load_2addr_b32 v[13:14], v2 offset0:48 offset1:104
	v_add_co_u32 v7, vcc_lo, v30, v27
	v_lshlrev_b64_e32 v[9:10], 2, v[9:10]
	v_dual_mov_b32 v16, v4 :: v_dual_add_nc_u32 v3, 0x2d8, v3
	ds_load_2addr_b32 v[17:18], v2 offset0:160 offset1:216
	s_wait_alu 0xfffd
	v_add_co_ci_u32_e32 v8, vcc_lo, v31, v28, vcc_lo
	v_add_co_u32 v5, vcc_lo, v30, v5
	v_lshlrev_b64_e32 v[11:12], 2, v[11:12]
	s_wait_alu 0xfffd
	v_add_co_ci_u32_e32 v6, vcc_lo, v31, v6, vcc_lo
	v_add_co_u32 v9, vcc_lo, v30, v9
	v_lshlrev_b64_e32 v[15:16], 2, v[15:16]
	;; [unrolled: 4-line block ×3, first 2 shown]
	s_wait_alu 0xfffd
	v_add_co_ci_u32_e32 v12, vcc_lo, v31, v12, vcc_lo
	v_add_co_u32 v15, vcc_lo, v30, v15
	s_wait_alu 0xfffd
	v_add_co_ci_u32_e32 v16, vcc_lo, v31, v16, vcc_lo
	v_add_co_u32 v2, vcc_lo, v30, v2
	s_wait_alu 0xfffd
	v_add_co_ci_u32_e32 v3, vcc_lo, v31, v3, vcc_lo
	s_wait_dscnt 0x2
	s_clause 0x1
	global_store_b32 v[7:8], v0, off
	global_store_b32 v[5:6], v1, off
	s_wait_dscnt 0x1
	s_clause 0x1
	global_store_b32 v[9:10], v13, off
	global_store_b32 v[11:12], v14, off
	s_wait_dscnt 0x0
	s_clause 0x1
	global_store_b32 v[15:16], v17, off
	global_store_b32 v[2:3], v18, off
.LBB0_21:
	s_nop 0
	s_sendmsg sendmsg(MSG_DEALLOC_VGPRS)
	s_endpgm
	.section	.rodata,"a",@progbits
	.p2align	6, 0x0
	.amdhsa_kernel fft_rtc_back_len784_factors_2_2_2_2_7_7_wgs_56_tpt_56_halfLds_half_op_CI_CI_unitstride_sbrr_C2R_dirReg
		.amdhsa_group_segment_fixed_size 0
		.amdhsa_private_segment_fixed_size 0
		.amdhsa_kernarg_size 104
		.amdhsa_user_sgpr_count 2
		.amdhsa_user_sgpr_dispatch_ptr 0
		.amdhsa_user_sgpr_queue_ptr 0
		.amdhsa_user_sgpr_kernarg_segment_ptr 1
		.amdhsa_user_sgpr_dispatch_id 0
		.amdhsa_user_sgpr_private_segment_size 0
		.amdhsa_wavefront_size32 1
		.amdhsa_uses_dynamic_stack 0
		.amdhsa_enable_private_segment 0
		.amdhsa_system_sgpr_workgroup_id_x 1
		.amdhsa_system_sgpr_workgroup_id_y 0
		.amdhsa_system_sgpr_workgroup_id_z 0
		.amdhsa_system_sgpr_workgroup_info 0
		.amdhsa_system_vgpr_workitem_id 0
		.amdhsa_next_free_vgpr 76
		.amdhsa_next_free_sgpr 39
		.amdhsa_reserve_vcc 1
		.amdhsa_float_round_mode_32 0
		.amdhsa_float_round_mode_16_64 0
		.amdhsa_float_denorm_mode_32 3
		.amdhsa_float_denorm_mode_16_64 3
		.amdhsa_fp16_overflow 0
		.amdhsa_workgroup_processor_mode 1
		.amdhsa_memory_ordered 1
		.amdhsa_forward_progress 0
		.amdhsa_round_robin_scheduling 0
		.amdhsa_exception_fp_ieee_invalid_op 0
		.amdhsa_exception_fp_denorm_src 0
		.amdhsa_exception_fp_ieee_div_zero 0
		.amdhsa_exception_fp_ieee_overflow 0
		.amdhsa_exception_fp_ieee_underflow 0
		.amdhsa_exception_fp_ieee_inexact 0
		.amdhsa_exception_int_div_zero 0
	.end_amdhsa_kernel
	.text
.Lfunc_end0:
	.size	fft_rtc_back_len784_factors_2_2_2_2_7_7_wgs_56_tpt_56_halfLds_half_op_CI_CI_unitstride_sbrr_C2R_dirReg, .Lfunc_end0-fft_rtc_back_len784_factors_2_2_2_2_7_7_wgs_56_tpt_56_halfLds_half_op_CI_CI_unitstride_sbrr_C2R_dirReg
                                        ; -- End function
	.section	.AMDGPU.csdata,"",@progbits
; Kernel info:
; codeLenInByte = 10064
; NumSgprs: 41
; NumVgprs: 76
; ScratchSize: 0
; MemoryBound: 0
; FloatMode: 240
; IeeeMode: 1
; LDSByteSize: 0 bytes/workgroup (compile time only)
; SGPRBlocks: 5
; VGPRBlocks: 9
; NumSGPRsForWavesPerEU: 41
; NumVGPRsForWavesPerEU: 76
; Occupancy: 16
; WaveLimiterHint : 1
; COMPUTE_PGM_RSRC2:SCRATCH_EN: 0
; COMPUTE_PGM_RSRC2:USER_SGPR: 2
; COMPUTE_PGM_RSRC2:TRAP_HANDLER: 0
; COMPUTE_PGM_RSRC2:TGID_X_EN: 1
; COMPUTE_PGM_RSRC2:TGID_Y_EN: 0
; COMPUTE_PGM_RSRC2:TGID_Z_EN: 0
; COMPUTE_PGM_RSRC2:TIDIG_COMP_CNT: 0
	.text
	.p2alignl 7, 3214868480
	.fill 96, 4, 3214868480
	.type	__hip_cuid_c2b1ca05ae948526,@object ; @__hip_cuid_c2b1ca05ae948526
	.section	.bss,"aw",@nobits
	.globl	__hip_cuid_c2b1ca05ae948526
__hip_cuid_c2b1ca05ae948526:
	.byte	0                               ; 0x0
	.size	__hip_cuid_c2b1ca05ae948526, 1

	.ident	"AMD clang version 19.0.0git (https://github.com/RadeonOpenCompute/llvm-project roc-6.4.0 25133 c7fe45cf4b819c5991fe208aaa96edf142730f1d)"
	.section	".note.GNU-stack","",@progbits
	.addrsig
	.addrsig_sym __hip_cuid_c2b1ca05ae948526
	.amdgpu_metadata
---
amdhsa.kernels:
  - .args:
      - .actual_access:  read_only
        .address_space:  global
        .offset:         0
        .size:           8
        .value_kind:     global_buffer
      - .offset:         8
        .size:           8
        .value_kind:     by_value
      - .actual_access:  read_only
        .address_space:  global
        .offset:         16
        .size:           8
        .value_kind:     global_buffer
      - .actual_access:  read_only
        .address_space:  global
        .offset:         24
        .size:           8
        .value_kind:     global_buffer
      - .actual_access:  read_only
        .address_space:  global
        .offset:         32
        .size:           8
        .value_kind:     global_buffer
      - .offset:         40
        .size:           8
        .value_kind:     by_value
      - .actual_access:  read_only
        .address_space:  global
        .offset:         48
        .size:           8
        .value_kind:     global_buffer
      - .actual_access:  read_only
        .address_space:  global
        .offset:         56
        .size:           8
        .value_kind:     global_buffer
      - .offset:         64
        .size:           4
        .value_kind:     by_value
      - .actual_access:  read_only
        .address_space:  global
        .offset:         72
        .size:           8
        .value_kind:     global_buffer
      - .actual_access:  read_only
        .address_space:  global
        .offset:         80
        .size:           8
        .value_kind:     global_buffer
      - .actual_access:  read_only
        .address_space:  global
        .offset:         88
        .size:           8
        .value_kind:     global_buffer
      - .actual_access:  write_only
        .address_space:  global
        .offset:         96
        .size:           8
        .value_kind:     global_buffer
    .group_segment_fixed_size: 0
    .kernarg_segment_align: 8
    .kernarg_segment_size: 104
    .language:       OpenCL C
    .language_version:
      - 2
      - 0
    .max_flat_workgroup_size: 56
    .name:           fft_rtc_back_len784_factors_2_2_2_2_7_7_wgs_56_tpt_56_halfLds_half_op_CI_CI_unitstride_sbrr_C2R_dirReg
    .private_segment_fixed_size: 0
    .sgpr_count:     41
    .sgpr_spill_count: 0
    .symbol:         fft_rtc_back_len784_factors_2_2_2_2_7_7_wgs_56_tpt_56_halfLds_half_op_CI_CI_unitstride_sbrr_C2R_dirReg.kd
    .uniform_work_group_size: 1
    .uses_dynamic_stack: false
    .vgpr_count:     76
    .vgpr_spill_count: 0
    .wavefront_size: 32
    .workgroup_processor_mode: 1
amdhsa.target:   amdgcn-amd-amdhsa--gfx1201
amdhsa.version:
  - 1
  - 2
...

	.end_amdgpu_metadata
